;; amdgpu-corpus repo=triton-lang/triton kind=triton arch=gfx1201 opt=O3 lang=triton
	.amdgcn_target "amdgcn-amd-amdhsa--gfx1201"
	.amdhsa_code_object_version 5
	.text
	.globl	_sum_bitmatrix_rows             ; -- Begin function _sum_bitmatrix_rows
	.p2align	8
	.type	_sum_bitmatrix_rows,@function
_sum_bitmatrix_rows:                    ; @_sum_bitmatrix_rows
.Lfunc_begin0:
	.file	1 "/root/src/amdgpu-assembly/repos/triton-lang__triton-aot" "sum_bitmatrix_rows.py"
	.loc	1 47 0                          ; sum_bitmatrix_rows.py:47:0
	.cfi_sections .debug_frame
	.cfi_startproc
; %bb.0:
	s_load_b96 s[4:6], s[0:1], 0x0
	v_dual_mov_b32 v6, 0 :: v_dual_and_b32 v1, 31, v0
.Ltmp0:
	.loc	1 67 32 prologue_end            ; sum_bitmatrix_rows.py:67:32
	s_bfe_u32 s7, ttmp8, 0x50019
	.loc	1 57 22                         ; sum_bitmatrix_rows.py:57:22
	s_lshl_b32 s2, ttmp9, 7
	.loc	1 57 46 is_stmt 0               ; sum_bitmatrix_rows.py:57:46
	s_lshl_b32 s9, s7, 5
	s_and_b32 s8, ttmp7, 0xffff
	v_or_b32_e32 v4, s9, v1
	v_mov_b32_e32 v5, 0
	.loc	1 58 23 is_stmt 1               ; sum_bitmatrix_rows.py:58:23
	s_mov_b32 s3, 0
	s_delay_alu instid0(VALU_DEP_2) | instskip(NEXT) | instid1(VALU_DEP_1)
	.loc	1 57 46                         ; sum_bitmatrix_rows.py:57:46
	v_lshrrev_b32_e32 v3, 2, v4
	.loc	1 57 33 is_stmt 0               ; sum_bitmatrix_rows.py:57:33
	v_and_or_b32 v2, v3, 63, s2
	.loc	1 58 23 is_stmt 1               ; sum_bitmatrix_rows.py:58:23
	s_lshl_b32 s2, s8, 2
	s_wait_kmcnt 0x0
	s_wait_alu depctr_sa_sdst(0)
	s_add_nc_u64 s[2:3], s[4:5], s[2:3]
	.loc	1 58 19 is_stmt 0               ; sum_bitmatrix_rows.py:58:19
	s_mov_b32 s4, exec_lo
	.loc	1 58 79                         ; sum_bitmatrix_rows.py:58:79
	v_cmpx_gt_i32_e64 s6, v2
	.loc	1 58 19                         ; sum_bitmatrix_rows.py:58:19
	s_cbranch_execz .LBB0_2
; %bb.1:
	.loc	1 0 19                          ; sum_bitmatrix_rows.py:0:19
	v_lshlrev_b32_e32 v6, 6, v2
	s_delay_alu instid0(VALU_DEP_1) | instskip(NEXT) | instid1(VALU_DEP_1)
	v_ashrrev_i32_e32 v7, 31, v6
	v_lshlrev_b64_e32 v[6:7], 2, v[6:7]
	s_wait_alu depctr_sa_sdst(0)
	s_delay_alu instid0(VALU_DEP_1) | instskip(NEXT) | instid1(VALU_DEP_1)
	v_add_co_u32 v6, vcc_lo, s2, v6
	v_add_co_ci_u32_e64 v7, null, s3, v7, vcc_lo
	.loc	1 58 19                         ; sum_bitmatrix_rows.py:58:19
	global_load_b32 v6, v[6:7], off
.LBB0_2:
	.loc	1 0 19                          ; sum_bitmatrix_rows.py:0:19
	s_or_b32 exec_lo, exec_lo, s4
	.loc	1 57 33 is_stmt 1               ; sum_bitmatrix_rows.py:57:33
	v_or_b32_e32 v2, 64, v2
	.loc	1 58 19                         ; sum_bitmatrix_rows.py:58:19
	s_mov_b32 s4, exec_lo
	s_delay_alu instid0(VALU_DEP_1)
	.loc	1 58 79 is_stmt 0               ; sum_bitmatrix_rows.py:58:79
	v_cmpx_gt_i32_e64 s6, v2
	.loc	1 58 19                         ; sum_bitmatrix_rows.py:58:19
	s_cbranch_execz .LBB0_4
; %bb.3:
	.loc	1 58 53                         ; sum_bitmatrix_rows.py:58:53
	v_lshlrev_b32_e32 v7, 6, v2
	s_delay_alu instid0(VALU_DEP_1) | instskip(NEXT) | instid1(VALU_DEP_1)
	.loc	1 58 43                         ; sum_bitmatrix_rows.py:58:43
	v_ashrrev_i32_e32 v8, 31, v7
	v_lshlrev_b64_e32 v[7:8], 2, v[7:8]
	s_wait_alu depctr_sa_sdst(0)
	s_delay_alu instid0(VALU_DEP_1) | instskip(SKIP_1) | instid1(VALU_DEP_2)
	v_add_co_u32 v7, vcc_lo, s2, v7
	s_wait_alu depctr_va_vcc(0)
	v_add_co_ci_u32_e64 v8, null, s3, v8, vcc_lo
	.loc	1 58 19                         ; sum_bitmatrix_rows.py:58:19
	global_load_b32 v5, v[7:8], off
.LBB0_4:
	.loc	1 0 19                          ; sum_bitmatrix_rows.py:0:19
	s_or_b32 exec_lo, exec_lo, s4
.Ltmp1:
	.loc	1 27 27 is_stmt 1               ; sum_bitmatrix_rows.py:27:27 @[ sum_bitmatrix_rows.py:61:28 ]
	v_and_b32_e32 v2, 3, v0
	s_mov_b32 s2, 0x76543210
	.loc	1 34 22                         ; sum_bitmatrix_rows.py:34:22 @[ sum_bitmatrix_rows.py:61:28 ]
	s_and_b32 s3, s9, 0x60
	s_and_b32 s4, s9, 0x80
	s_wait_alu depctr_sa_sdst(0)
	s_lshr_b32 s5, s3, 2
	.loc	1 27 14                         ; sum_bitmatrix_rows.py:27:14 @[ sum_bitmatrix_rows.py:61:28 ]
	s_wait_loadcnt 0x0
	v_lshrrev_b32_e32 v6, v2, v6
	.loc	1 34 22                         ; sum_bitmatrix_rows.py:34:22 @[ sum_bitmatrix_rows.py:61:28 ]
	s_add_co_i32 s4, s4, 0
	s_delay_alu instid0(VALU_DEP_1) | instskip(NEXT) | instid1(VALU_DEP_1)
	.loc	1 27 54                         ; sum_bitmatrix_rows.py:27:54 @[ sum_bitmatrix_rows.py:61:28 ]
	v_and_b32_e32 v6, 0x11111111, v6
.Ltmp2:
	.file	2 "/root/.local/lib/python3.13/site-packages/triton/language" "standard.py"
	.loc	2 293 36                        ; standard.py:293:36 @[ sum_bitmatrix_rows.py:28:18 @[ sum_bitmatrix_rows.py:61:28 ] ]
	v_permlanex16_b32 v7, v6, s2, 0xfedcba98 op_sel:[1,0]
	s_delay_alu instid0(VALU_DEP_1) | instskip(NEXT) | instid1(VALU_DEP_1)
.Ltmp3:
	.loc	2 263 15                        ; standard.py:263:15 @[ standard.py:293:36 @[ sum_bitmatrix_rows.py:28:18 @[ sum_bitmatrix_rows.py:61:28 ] ] ]
	v_add_nc_u32_e32 v6, v7, v6
.Ltmp4:
	.loc	2 293 36                        ; standard.py:293:36 @[ sum_bitmatrix_rows.py:28:18 @[ sum_bitmatrix_rows.py:61:28 ] ]
	v_mov_b32_e32 v7, v6
.Ltmp5:
	.loc	1 27 14                         ; sum_bitmatrix_rows.py:27:14 @[ sum_bitmatrix_rows.py:61:28 ]
	v_lshrrev_b32_e32 v5, v2, v5
	s_delay_alu instid0(VALU_DEP_2) | instskip(NEXT) | instid1(VALU_DEP_1)
.Ltmp6:
	.loc	2 293 36                        ; standard.py:293:36 @[ sum_bitmatrix_rows.py:28:18 @[ sum_bitmatrix_rows.py:61:28 ] ]
	v_mov_b32_dpp v7, v7 row_shr:8 row_mask:0xf bank_mask:0xc
	v_mov_b32_dpp v7, v6 row_shl:8 row_mask:0xf bank_mask:0x3
	s_delay_alu instid0(VALU_DEP_1) | instskip(NEXT) | instid1(VALU_DEP_4)
.Ltmp7:
	.loc	2 263 15                        ; standard.py:263:15 @[ standard.py:293:36 @[ sum_bitmatrix_rows.py:28:18 @[ sum_bitmatrix_rows.py:61:28 ] ] ]
	v_add_nc_u32_e32 v6, v7, v6
.Ltmp8:
	.loc	1 27 54                         ; sum_bitmatrix_rows.py:27:54 @[ sum_bitmatrix_rows.py:61:28 ]
	v_and_b32_e32 v5, 0x11111111, v5
	s_delay_alu instid0(VALU_DEP_1) | instskip(NEXT) | instid1(VALU_DEP_1)
.Ltmp9:
	.loc	2 293 36                        ; standard.py:293:36 @[ sum_bitmatrix_rows.py:28:18 @[ sum_bitmatrix_rows.py:61:28 ] ]
	v_permlanex16_b32 v8, v5, s2, 0xfedcba98 op_sel:[1,0]
.Ltmp10:
	.loc	2 263 15                        ; standard.py:263:15 @[ standard.py:293:36 @[ sum_bitmatrix_rows.py:28:18 @[ sum_bitmatrix_rows.py:61:28 ] ] ]
	v_add_nc_u32_e32 v5, v8, v5
	s_delay_alu instid0(VALU_DEP_1) | instskip(NEXT) | instid1(VALU_DEP_1)
.Ltmp11:
	.loc	2 293 36                        ; standard.py:293:36 @[ sum_bitmatrix_rows.py:28:18 @[ sum_bitmatrix_rows.py:61:28 ] ]
	v_mov_b32_e32 v8, v5
	v_mov_b32_dpp v8, v8 row_shr:8 row_mask:0xf bank_mask:0xc
	s_delay_alu instid0(VALU_DEP_1) | instskip(NEXT) | instid1(VALU_DEP_1)
	v_mov_b32_dpp v8, v5 row_shl:8 row_mask:0xf bank_mask:0x3
	v_dual_mov_b32 v8, v6 :: v_dual_add_nc_u32 v7, v8, v5
.Ltmp12:
	.loc	1 34 22                         ; sum_bitmatrix_rows.py:34:22 @[ sum_bitmatrix_rows.py:61:28 ]
	v_lshlrev_b32_e32 v5, 5, v2
	s_delay_alu instid0(VALU_DEP_2) | instskip(NEXT) | instid1(VALU_DEP_3)
.Ltmp13:
	.loc	2 293 36                        ; standard.py:293:36 @[ sum_bitmatrix_rows.py:28:18 @[ sum_bitmatrix_rows.py:61:28 ] ]
	v_mov_b32_e32 v9, v7
	v_mov_b32_dpp v8, v8 row_shr:4 row_mask:0xf bank_mask:0xa
	s_delay_alu instid0(VALU_DEP_3)
.Ltmp14:
	.loc	1 34 22                         ; sum_bitmatrix_rows.py:34:22 @[ sum_bitmatrix_rows.py:61:28 ]
	v_add3_u32 v10, s4, s5, v5
	s_lshl_b32 s4, s7, 7
	s_lshl_b32 s5, s7, 1
.Ltmp15:
	.loc	2 293 36                        ; standard.py:293:36 @[ sum_bitmatrix_rows.py:28:18 @[ sum_bitmatrix_rows.py:61:28 ] ]
	v_mov_b32_dpp v9, v9 row_shr:4 row_mask:0xf bank_mask:0xa
	v_mov_b32_dpp v8, v6 row_shl:4 row_mask:0xf bank_mask:0x5
.Ltmp16:
	.loc	1 34 22                         ; sum_bitmatrix_rows.py:34:22 @[ sum_bitmatrix_rows.py:61:28 ]
	s_wait_alu depctr_sa_sdst(0)
	s_and_b32 s4, s4, 0x80
	s_and_b32 s5, s5, 4
	s_wait_alu depctr_sa_sdst(0)
	s_add_co_i32 s4, s4, 0
.Ltmp17:
	.loc	2 293 36                        ; standard.py:293:36 @[ sum_bitmatrix_rows.py:28:18 @[ sum_bitmatrix_rows.py:61:28 ] ]
	v_mov_b32_dpp v9, v7 row_shl:4 row_mask:0xf bank_mask:0x5
.Ltmp18:
	.loc	2 263 15                        ; standard.py:263:15 @[ standard.py:293:36 @[ sum_bitmatrix_rows.py:28:18 @[ sum_bitmatrix_rows.py:61:28 ] ] ]
	v_add_nc_u32_e32 v6, v8, v6
.Ltmp19:
	.loc	1 34 22                         ; sum_bitmatrix_rows.py:34:22 @[ sum_bitmatrix_rows.py:61:28 ]
	s_wait_alu depctr_sa_sdst(0)
	s_add_co_i32 s4, s4, s5
	.loc	1 35 32                         ; sum_bitmatrix_rows.py:35:32 @[ sum_bitmatrix_rows.py:61:28 ]
	v_and_b32_e32 v8, 4, v0
.Ltmp20:
	.loc	2 263 15                        ; standard.py:263:15 @[ standard.py:293:36 @[ sum_bitmatrix_rows.py:28:18 @[ sum_bitmatrix_rows.py:61:28 ] ] ]
	v_add_nc_u32_e32 v7, v9, v7
.Ltmp21:
	.loc	1 65 87                         ; sum_bitmatrix_rows.py:65:87
	v_lshlrev_b32_e32 v9, 2, v4
.Ltmp22:
	.loc	1 34 22                         ; sum_bitmatrix_rows.py:34:22 @[ sum_bitmatrix_rows.py:61:28 ]
	ds_store_b64 v10, v[6:7]
	s_wait_dscnt 0x0
	s_barrier_signal -1
	.loc	1 27 27                         ; sum_bitmatrix_rows.py:27:27 @[ sum_bitmatrix_rows.py:61:28 ]
	v_and_b32_e32 v6, 24, v0
.Ltmp23:
	.loc	1 65 87                         ; sum_bitmatrix_rows.py:65:87
	v_and_b32_e32 v9, 0x1fc, v9
.Ltmp24:
	.loc	1 34 22                         ; sum_bitmatrix_rows.py:34:22 @[ sum_bitmatrix_rows.py:61:28 ]
	s_wait_alu depctr_sa_sdst(0)
	s_delay_alu instid0(VALU_DEP_2)
	v_add3_u32 v7, s4, v5, v6
	s_barrier_wait -1
	global_inv scope:SCOPE_SE
	ds_load_b32 v7, v7
	.loc	1 35 14                         ; sum_bitmatrix_rows.py:35:14 @[ sum_bitmatrix_rows.py:61:28 ]
	s_wait_dscnt 0x0
	v_lshrrev_b32_e32 v7, v8, v7
	s_delay_alu instid0(VALU_DEP_1) | instskip(NEXT) | instid1(VALU_DEP_1)
	.loc	1 35 66 is_stmt 0               ; sum_bitmatrix_rows.py:35:66 @[ sum_bitmatrix_rows.py:61:28 ]
	v_and_b32_e32 v7, 0xf0f0f0f, v7
.Ltmp25:
	.loc	2 293 36 is_stmt 1              ; standard.py:293:36 @[ sum_bitmatrix_rows.py:36:18 @[ sum_bitmatrix_rows.py:61:28 ] ]
	v_permlanex16_b32 v8, v7, s2, 0xfedcba98 op_sel:[1,0]
	s_delay_alu instid0(VALU_DEP_1) | instskip(NEXT) | instid1(VALU_DEP_1)
.Ltmp26:
	.loc	2 263 15                        ; standard.py:263:15 @[ standard.py:293:36 @[ sum_bitmatrix_rows.py:36:18 @[ sum_bitmatrix_rows.py:61:28 ] ] ]
	v_add_nc_u32_e32 v7, v7, v8
.Ltmp27:
	.loc	2 293 36                        ; standard.py:293:36 @[ sum_bitmatrix_rows.py:36:18 @[ sum_bitmatrix_rows.py:61:28 ] ]
	v_mov_b32_e32 v8, v7
	s_delay_alu instid0(VALU_DEP_1) | instskip(NEXT) | instid1(VALU_DEP_1)
	v_mov_b32_dpp v8, v8 row_shr:8 row_mask:0xf bank_mask:0xc
	v_mov_b32_dpp v8, v7 row_shl:8 row_mask:0xf bank_mask:0x3
	s_delay_alu instid0(VALU_DEP_1) | instskip(SKIP_3) | instid1(VALU_DEP_2)
.Ltmp28:
	.loc	2 263 15                        ; standard.py:263:15 @[ standard.py:293:36 @[ sum_bitmatrix_rows.py:36:18 @[ sum_bitmatrix_rows.py:61:28 ] ] ]
	v_add_nc_u32_e32 v7, v7, v8
.Ltmp29:
	.loc	1 65 87                         ; sum_bitmatrix_rows.py:65:87
	v_xad_u32 v8, v9, s3, 0
	.loc	1 64 21                         ; sum_bitmatrix_rows.py:64:21
	s_lshl_b32 s3, s8, 5
	.loc	1 65 87                         ; sum_bitmatrix_rows.py:65:87
	s_bitcmp1_b32 s7, 2
.Ltmp30:
	.loc	1 40 60                         ; sum_bitmatrix_rows.py:40:60 @[ sum_bitmatrix_rows.py:61:28 ]
	v_bfe_u32 v6, v7, v6, 8
.Ltmp31:
	.loc	1 65 87                         ; sum_bitmatrix_rows.py:65:87
	s_cselect_b32 s2, 0, -1
	s_wait_loadcnt 0x0
	s_barrier_signal -1
	s_barrier_wait -1
	global_inv scope:SCOPE_SE
	ds_store_b32 v8, v6
	s_wait_loadcnt_dscnt 0x0
	s_barrier_signal -1
	s_barrier_wait -1
	global_inv scope:SCOPE_SE
	s_cbranch_scc1 .LBB0_6
; %bb.5:
	.loc	1 0 87 is_stmt 0                ; sum_bitmatrix_rows.py:0:87
	s_load_b96 s[4:6], s[0:1], 0x18
	.loc	1 64 39 is_stmt 1               ; sum_bitmatrix_rows.py:64:39
	v_and_b32_e32 v4, 0x7c, v4
	.loc	1 64 26 is_stmt 0               ; sum_bitmatrix_rows.py:64:26
	v_and_or_b32 v7, v3, 31, s3
	.loc	1 65 87 is_stmt 1               ; sum_bitmatrix_rows.py:65:87
	v_lshlrev_b32_e32 v8, 7, v2
	.loc	1 63 34                         ; sum_bitmatrix_rows.py:63:34
	v_lshl_or_b32 v3, ttmp9, 2, v2
	s_delay_alu instid0(VALU_DEP_4) | instskip(NEXT) | instid1(VALU_DEP_1)
	.loc	1 65 87                         ; sum_bitmatrix_rows.py:65:87
	v_xor_b32_e32 v4, v4, v5
	v_add3_u32 v5, 0, v8, v4
	s_delay_alu instid0(VALU_DEP_3) | instskip(SKIP_4) | instid1(VALU_DEP_2)
	.loc	1 65 27 is_stmt 0               ; sum_bitmatrix_rows.py:65:27
	v_ashrrev_i32_e32 v4, 31, v3
	.loc	1 65 87                         ; sum_bitmatrix_rows.py:65:87
	ds_load_b32 v5, v5
	.loc	1 65 27                         ; sum_bitmatrix_rows.py:65:27
	v_lshlrev_b64_e32 v[3:4], 2, v[3:4]
	.loc	1 65 76                         ; sum_bitmatrix_rows.py:65:76
	s_wait_kmcnt 0x0
	v_mul_lo_u32 v7, s6, v7
	.loc	1 65 27                         ; sum_bitmatrix_rows.py:65:27
	v_add_co_u32 v3, vcc_lo, s4, v3
	s_wait_alu depctr_va_vcc(0)
	s_delay_alu instid0(VALU_DEP_3) | instskip(NEXT) | instid1(VALU_DEP_3)
	v_add_co_ci_u32_e64 v4, null, s5, v4, vcc_lo
	.loc	1 65 58                         ; sum_bitmatrix_rows.py:65:58
	v_ashrrev_i32_e32 v8, 31, v7
	s_delay_alu instid0(VALU_DEP_1) | instskip(NEXT) | instid1(VALU_DEP_1)
	v_lshlrev_b64_e32 v[7:8], 2, v[7:8]
	v_add_co_u32 v3, vcc_lo, v3, v7
	s_wait_alu depctr_va_vcc(0)
	s_delay_alu instid0(VALU_DEP_2)
	v_add_co_ci_u32_e64 v4, null, v4, v8, vcc_lo
	.loc	1 65 87                         ; sum_bitmatrix_rows.py:65:87
	s_wait_dscnt 0x0
	global_store_b32 v[3:4], v5, off
.LBB0_6:
.Ltmp32:
	.loc	2 293 36 is_stmt 1              ; standard.py:293:36 @[ sum_bitmatrix_rows.py:67:56 ]
	s_wait_loadcnt 0x0
	s_wait_storecnt 0x0
	s_barrier_signal -1
	v_lshlrev_b32_e32 v3, 2, v1
	s_wait_alu depctr_sa_sdst(0)
	s_and_not1_b32 vcc_lo, exec_lo, s2
	s_barrier_wait -1
	global_inv scope:SCOPE_SE
	s_wait_alu depctr_sa_sdst(0)
	s_cbranch_vccnz .LBB0_8
; %bb.7:
	.loc	2 0 36 is_stmt 0                ; standard.py:0:36
	s_and_b32 s2, s7, 3
	s_wait_alu depctr_sa_sdst(0)
	s_lshl2_add_u32 s2, s2, 0
	s_wait_alu depctr_sa_sdst(0)
	v_lshl_add_u32 v4, v3, 2, s2
	.loc	2 293 36                        ; standard.py:293:36 @[ sum_bitmatrix_rows.py:67:56 ]
	ds_store_b32 v4, v6
.LBB0_8:
	s_wait_loadcnt_dscnt 0x0
	s_barrier_signal -1
	v_cmp_gt_u32_e32 vcc_lo, 0x80, v0
	v_lshl_add_u32 v0, v0, 2, 0
	v_mov_b32_e32 v4, 0
	s_barrier_wait -1
	global_inv scope:SCOPE_SE
	s_and_saveexec_b32 s2, vcc_lo
; %bb.9:
	ds_load_b32 v4, v0
; %bb.10:
	.loc	2 0 36                          ; standard.py:0:36
	s_wait_alu depctr_sa_sdst(0)
	s_or_b32 exec_lo, exec_lo, s2
	.loc	2 293 36                        ; standard.py:293:36 @[ sum_bitmatrix_rows.py:67:56 ]
	s_wait_dscnt 0x0
	v_mov_b32_e32 v5, v4
	v_cmp_eq_u32_e64 s2, 0, v2
	s_delay_alu instid0(VALU_DEP_2) | instskip(SKIP_1) | instid1(VALU_DEP_1)
	v_mov_b32_dpp v5, v5 quad_perm:[2,3,0,1] row_mask:0xf bank_mask:0xf
	s_and_b32 s4, vcc_lo, s2
.Ltmp33:
	.loc	2 263 15 is_stmt 1              ; standard.py:263:15 @[ standard.py:293:36 @[ sum_bitmatrix_rows.py:67:56 ] ]
	v_add_nc_u32_e32 v4, v5, v4
	s_delay_alu instid0(VALU_DEP_1) | instskip(NEXT) | instid1(VALU_DEP_1)
.Ltmp34:
	.loc	2 293 36                        ; standard.py:293:36 @[ sum_bitmatrix_rows.py:67:56 ]
	v_mov_b32_e32 v5, v4
	v_mov_b32_dpp v5, v5 quad_perm:[1,0,3,2] row_mask:0xf bank_mask:0xf
	s_wait_alu depctr_sa_sdst(0)
	s_and_saveexec_b32 s2, s4
; %bb.11:
	.loc	2 0 36 is_stmt 0                ; standard.py:0:36
	s_delay_alu instid0(VALU_DEP_1)
	v_add_nc_u32_e32 v2, v4, v5
	.loc	2 293 36                        ; standard.py:293:36 @[ sum_bitmatrix_rows.py:67:56 ]
	ds_store_b32 v0, v2
; %bb.12:
	.loc	2 0 36                          ; standard.py:0:36
	s_wait_alu depctr_sa_sdst(0)
	s_or_b32 exec_lo, exec_lo, s2
	.loc	2 293 36                        ; standard.py:293:36 @[ sum_bitmatrix_rows.py:67:56 ]
	s_wait_loadcnt_dscnt 0x0
	s_barrier_signal -1
.Ltmp35:
	.loc	1 67 32 is_stmt 1               ; sum_bitmatrix_rows.py:67:32
	s_and_b32 s2, s7, 7
.Ltmp36:
	.loc	2 293 36                        ; standard.py:293:36 @[ sum_bitmatrix_rows.py:67:56 ]
	s_barrier_wait -1
	global_inv scope:SCOPE_SE
.Ltmp37:
	.loc	1 67 32                         ; sum_bitmatrix_rows.py:67:32
	s_cbranch_scc0 .LBB0_14
; %bb.13:
	.loc	1 67 4 is_stmt 0                ; sum_bitmatrix_rows.py:67:4
	s_endpgm
.LBB0_14:
	.loc	1 0 4                           ; sum_bitmatrix_rows.py:0:4
	v_lshl_add_u32 v0, v3, 2, 0
	s_load_b64 s[0:1], s[0:1], 0x10
	.loc	1 64 26 is_stmt 1               ; sum_bitmatrix_rows.py:64:26
	v_or_b32_e32 v1, s3, v1
.Ltmp38:
	.loc	2 293 36                        ; standard.py:293:36 @[ sum_bitmatrix_rows.py:67:56 ]
	ds_load_b32 v0, v0
.Ltmp39:
	.loc	1 67 24                         ; sum_bitmatrix_rows.py:67:24
	v_lshlrev_b32_e32 v1, 2, v1
	.loc	1 67 32 is_stmt 0               ; sum_bitmatrix_rows.py:67:32
	s_wait_dscnt 0x0
	s_wait_kmcnt 0x0
	global_atomic_add_u32 v1, v0, s[0:1] scope:SCOPE_DEV
	.loc	1 67 4                          ; sum_bitmatrix_rows.py:67:4
	s_endpgm
.Ltmp40:
	.section	.rodata,"a",@progbits
	.p2align	6, 0x0
	.amdhsa_kernel _sum_bitmatrix_rows
		.amdhsa_group_segment_fixed_size 0
		.amdhsa_private_segment_fixed_size 0
		.amdhsa_kernarg_size 56
		.amdhsa_user_sgpr_count 2
		.amdhsa_user_sgpr_dispatch_ptr 0
		.amdhsa_user_sgpr_queue_ptr 0
		.amdhsa_user_sgpr_kernarg_segment_ptr 1
		.amdhsa_user_sgpr_dispatch_id 0
		.amdhsa_user_sgpr_private_segment_size 0
		.amdhsa_wavefront_size32 1
		.amdhsa_uses_dynamic_stack 0
		.amdhsa_enable_private_segment 0
		.amdhsa_system_sgpr_workgroup_id_x 1
		.amdhsa_system_sgpr_workgroup_id_y 1
		.amdhsa_system_sgpr_workgroup_id_z 1
		.amdhsa_system_sgpr_workgroup_info 0
		.amdhsa_system_vgpr_workitem_id 0
		.amdhsa_next_free_vgpr 11
		.amdhsa_next_free_sgpr 10
		.amdhsa_reserve_vcc 1
		.amdhsa_float_round_mode_32 0
		.amdhsa_float_round_mode_16_64 0
		.amdhsa_float_denorm_mode_32 3
		.amdhsa_float_denorm_mode_16_64 3
		.amdhsa_fp16_overflow 0
		.amdhsa_workgroup_processor_mode 1
		.amdhsa_memory_ordered 1
		.amdhsa_forward_progress 1
		.amdhsa_inst_pref_size 10
		.amdhsa_round_robin_scheduling 0
		.amdhsa_exception_fp_ieee_invalid_op 0
		.amdhsa_exception_fp_denorm_src 0
		.amdhsa_exception_fp_ieee_div_zero 0
		.amdhsa_exception_fp_ieee_overflow 0
		.amdhsa_exception_fp_ieee_underflow 0
		.amdhsa_exception_fp_ieee_inexact 0
		.amdhsa_exception_int_div_zero 0
	.end_amdhsa_kernel
	.text
.Lfunc_end0:
	.size	_sum_bitmatrix_rows, .Lfunc_end0-_sum_bitmatrix_rows
	.cfi_endproc
                                        ; -- End function
	.set _sum_bitmatrix_rows.num_vgpr, 11
	.set _sum_bitmatrix_rows.num_agpr, 0
	.set _sum_bitmatrix_rows.numbered_sgpr, 10
	.set _sum_bitmatrix_rows.num_named_barrier, 0
	.set _sum_bitmatrix_rows.private_seg_size, 0
	.set _sum_bitmatrix_rows.uses_vcc, 1
	.set _sum_bitmatrix_rows.uses_flat_scratch, 0
	.set _sum_bitmatrix_rows.has_dyn_sized_stack, 0
	.set _sum_bitmatrix_rows.has_recursion, 0
	.set _sum_bitmatrix_rows.has_indirect_call, 0
	.section	.AMDGPU.csdata,"",@progbits
; Kernel info:
; codeLenInByte = 1240
; TotalNumSgprs: 12
; NumVgprs: 11
; ScratchSize: 0
; MemoryBound: 0
; FloatMode: 240
; IeeeMode: 1
; LDSByteSize: 0 bytes/workgroup (compile time only)
; SGPRBlocks: 0
; VGPRBlocks: 1
; NumSGPRsForWavesPerEU: 12
; NumVGPRsForWavesPerEU: 11
; Occupancy: 16
; WaveLimiterHint : 0
; COMPUTE_PGM_RSRC2:SCRATCH_EN: 0
; COMPUTE_PGM_RSRC2:USER_SGPR: 2
; COMPUTE_PGM_RSRC2:TRAP_HANDLER: 0
; COMPUTE_PGM_RSRC2:TGID_X_EN: 1
; COMPUTE_PGM_RSRC2:TGID_Y_EN: 1
; COMPUTE_PGM_RSRC2:TGID_Z_EN: 1
; COMPUTE_PGM_RSRC2:TIDIG_COMP_CNT: 0
	.text
	.p2alignl 7, 3214868480
	.fill 96, 4, 3214868480
	.section	.AMDGPU.gpr_maximums,"",@progbits
	.set amdgpu.max_num_vgpr, 0
	.set amdgpu.max_num_agpr, 0
	.set amdgpu.max_num_sgpr, 0
	.set amdgpu.max_num_named_barrier, 0
	.text
	.section	.debug_abbrev,"",@progbits
	.byte	1                               ; Abbreviation Code
	.byte	17                              ; DW_TAG_compile_unit
	.byte	1                               ; DW_CHILDREN_yes
	.byte	37                              ; DW_AT_producer
	.byte	14                              ; DW_FORM_strp
	.byte	19                              ; DW_AT_language
	.byte	5                               ; DW_FORM_data2
	.byte	3                               ; DW_AT_name
	.byte	14                              ; DW_FORM_strp
	.byte	16                              ; DW_AT_stmt_list
	.byte	23                              ; DW_FORM_sec_offset
	.byte	27                              ; DW_AT_comp_dir
	.byte	14                              ; DW_FORM_strp
	.byte	17                              ; DW_AT_low_pc
	.byte	1                               ; DW_FORM_addr
	.byte	18                              ; DW_AT_high_pc
	.byte	6                               ; DW_FORM_data4
	.byte	0                               ; EOM(1)
	.byte	0                               ; EOM(2)
	.byte	2                               ; Abbreviation Code
	.byte	46                              ; DW_TAG_subprogram
	.byte	0                               ; DW_CHILDREN_no
	.byte	3                               ; DW_AT_name
	.byte	14                              ; DW_FORM_strp
	.byte	32                              ; DW_AT_inline
	.byte	11                              ; DW_FORM_data1
	.byte	0                               ; EOM(1)
	.byte	0                               ; EOM(2)
	.byte	3                               ; Abbreviation Code
	.byte	46                              ; DW_TAG_subprogram
	.byte	1                               ; DW_CHILDREN_yes
	.byte	17                              ; DW_AT_low_pc
	.byte	1                               ; DW_FORM_addr
	.byte	18                              ; DW_AT_high_pc
	.byte	6                               ; DW_FORM_data4
	.byte	49                              ; DW_AT_abstract_origin
	.byte	19                              ; DW_FORM_ref4
	.byte	0                               ; EOM(1)
	.byte	0                               ; EOM(2)
	.byte	4                               ; Abbreviation Code
	.byte	29                              ; DW_TAG_inlined_subroutine
	.byte	1                               ; DW_CHILDREN_yes
	.byte	49                              ; DW_AT_abstract_origin
	.byte	19                              ; DW_FORM_ref4
	.byte	85                              ; DW_AT_ranges
	.byte	23                              ; DW_FORM_sec_offset
	.byte	88                              ; DW_AT_call_file
	.byte	11                              ; DW_FORM_data1
	.byte	89                              ; DW_AT_call_line
	.byte	11                              ; DW_FORM_data1
	.byte	87                              ; DW_AT_call_column
	.byte	11                              ; DW_FORM_data1
	.byte	0                               ; EOM(1)
	.byte	0                               ; EOM(2)
	.byte	5                               ; Abbreviation Code
	.byte	29                              ; DW_TAG_inlined_subroutine
	.byte	0                               ; DW_CHILDREN_no
	.byte	49                              ; DW_AT_abstract_origin
	.byte	19                              ; DW_FORM_ref4
	.byte	85                              ; DW_AT_ranges
	.byte	23                              ; DW_FORM_sec_offset
	.byte	88                              ; DW_AT_call_file
	.byte	11                              ; DW_FORM_data1
	.byte	89                              ; DW_AT_call_line
	.byte	5                               ; DW_FORM_data2
	.byte	87                              ; DW_AT_call_column
	.byte	11                              ; DW_FORM_data1
	.byte	0                               ; EOM(1)
	.byte	0                               ; EOM(2)
	.byte	6                               ; Abbreviation Code
	.byte	29                              ; DW_TAG_inlined_subroutine
	.byte	1                               ; DW_CHILDREN_yes
	.byte	49                              ; DW_AT_abstract_origin
	.byte	19                              ; DW_FORM_ref4
	.byte	17                              ; DW_AT_low_pc
	.byte	1                               ; DW_FORM_addr
	.byte	18                              ; DW_AT_high_pc
	.byte	6                               ; DW_FORM_data4
	.byte	88                              ; DW_AT_call_file
	.byte	11                              ; DW_FORM_data1
	.byte	89                              ; DW_AT_call_line
	.byte	11                              ; DW_FORM_data1
	.byte	87                              ; DW_AT_call_column
	.byte	11                              ; DW_FORM_data1
	.byte	0                               ; EOM(1)
	.byte	0                               ; EOM(2)
	.byte	7                               ; Abbreviation Code
	.byte	29                              ; DW_TAG_inlined_subroutine
	.byte	0                               ; DW_CHILDREN_no
	.byte	49                              ; DW_AT_abstract_origin
	.byte	19                              ; DW_FORM_ref4
	.byte	17                              ; DW_AT_low_pc
	.byte	1                               ; DW_FORM_addr
	.byte	18                              ; DW_AT_high_pc
	.byte	6                               ; DW_FORM_data4
	.byte	88                              ; DW_AT_call_file
	.byte	11                              ; DW_FORM_data1
	.byte	89                              ; DW_AT_call_line
	.byte	5                               ; DW_FORM_data2
	.byte	87                              ; DW_AT_call_column
	.byte	11                              ; DW_FORM_data1
	.byte	0                               ; EOM(1)
	.byte	0                               ; EOM(2)
	;; [unrolled: 1-line block ×3, first 2 shown]
	.section	.debug_info,"",@progbits
.Lcu_begin0:
	.long	.Ldebug_info_end0-.Ldebug_info_start0 ; Length of Unit
.Ldebug_info_start0:
	.short	4                               ; DWARF version number
	.long	.debug_abbrev                   ; Offset Into Abbrev. Section
	.byte	8                               ; Address Size (in bytes)
	.byte	1                               ; Abbrev [1] 0xb:0xa3 DW_TAG_compile_unit
	.long	.Linfo_string0                  ; DW_AT_producer
	.short	2                               ; DW_AT_language
	.long	.Linfo_string1                  ; DW_AT_name
	.long	.Lline_table_start0             ; DW_AT_stmt_list
	.long	.Linfo_string2                  ; DW_AT_comp_dir
	.quad	.Lfunc_begin0                   ; DW_AT_low_pc
	.long	.Lfunc_end0-.Lfunc_begin0       ; DW_AT_high_pc
	.byte	2                               ; Abbrev [2] 0x2a:0x6 DW_TAG_subprogram
	.long	.Linfo_string3                  ; DW_AT_name
	.byte	1                               ; DW_AT_inline
	.byte	3                               ; Abbrev [3] 0x30:0x7d DW_TAG_subprogram
	.quad	.Lfunc_begin0                   ; DW_AT_low_pc
	.long	.Lfunc_end0-.Lfunc_begin0       ; DW_AT_high_pc
	.long	42                              ; DW_AT_abstract_origin
	.byte	4                               ; Abbrev [4] 0x41:0x49 DW_TAG_inlined_subroutine
	.long	42                              ; DW_AT_abstract_origin
	.long	.Ldebug_ranges0                 ; DW_AT_ranges
	.byte	1                               ; DW_AT_call_file
	.byte	61                              ; DW_AT_call_line
	.byte	28                              ; DW_AT_call_column
	.byte	4                               ; Abbrev [4] 0x4d:0x1a DW_TAG_inlined_subroutine
	.long	42                              ; DW_AT_abstract_origin
	.long	.Ldebug_ranges1                 ; DW_AT_ranges
	.byte	1                               ; DW_AT_call_file
	.byte	28                              ; DW_AT_call_line
	.byte	18                              ; DW_AT_call_column
	.byte	5                               ; Abbrev [5] 0x59:0xd DW_TAG_inlined_subroutine
	.long	42                              ; DW_AT_abstract_origin
	.long	.Ldebug_ranges2                 ; DW_AT_ranges
	.byte	2                               ; DW_AT_call_file
	.short	293                             ; DW_AT_call_line
	.byte	36                              ; DW_AT_call_column
	.byte	0                               ; End Of Children Mark
	.byte	6                               ; Abbrev [6] 0x67:0x22 DW_TAG_inlined_subroutine
	.long	42                              ; DW_AT_abstract_origin
	.quad	.Ltmp25                         ; DW_AT_low_pc
	.long	.Ltmp29-.Ltmp25                 ; DW_AT_high_pc
	.byte	1                               ; DW_AT_call_file
	.byte	36                              ; DW_AT_call_line
	.byte	18                              ; DW_AT_call_column
	.byte	5                               ; Abbrev [5] 0x7b:0xd DW_TAG_inlined_subroutine
	.long	42                              ; DW_AT_abstract_origin
	.long	.Ldebug_ranges3                 ; DW_AT_ranges
	.byte	2                               ; DW_AT_call_file
	.short	293                             ; DW_AT_call_line
	.byte	36                              ; DW_AT_call_column
	.byte	0                               ; End Of Children Mark
	.byte	0                               ; End Of Children Mark
	.byte	4                               ; Abbrev [4] 0x8a:0x22 DW_TAG_inlined_subroutine
	.long	42                              ; DW_AT_abstract_origin
	.long	.Ldebug_ranges4                 ; DW_AT_ranges
	.byte	1                               ; DW_AT_call_file
	.byte	67                              ; DW_AT_call_line
	.byte	56                              ; DW_AT_call_column
	.byte	7                               ; Abbrev [7] 0x96:0x15 DW_TAG_inlined_subroutine
	.long	42                              ; DW_AT_abstract_origin
	.quad	.Ltmp33                         ; DW_AT_low_pc
	.long	.Ltmp34-.Ltmp33                 ; DW_AT_high_pc
	.byte	2                               ; DW_AT_call_file
	.short	293                             ; DW_AT_call_line
	.byte	36                              ; DW_AT_call_column
	.byte	0                               ; End Of Children Mark
	.byte	0                               ; End Of Children Mark
	;; [unrolled: 1-line block ×3, first 2 shown]
.Ldebug_info_end0:
	.section	.debug_ranges,"",@progbits
.Ldebug_ranges0:
	.quad	.Ltmp1-.Lfunc_begin0
	.quad	.Ltmp21-.Lfunc_begin0
	;; [unrolled: 1-line block ×8, first 2 shown]
	.quad	0
	.quad	0
.Ldebug_ranges1:
	.quad	.Ltmp2-.Lfunc_begin0
	.quad	.Ltmp5-.Lfunc_begin0
	;; [unrolled: 1-line block ×14, first 2 shown]
	.quad	0
	.quad	0
.Ldebug_ranges2:
	.quad	.Ltmp3-.Lfunc_begin0
	.quad	.Ltmp4-.Lfunc_begin0
	;; [unrolled: 1-line block ×10, first 2 shown]
	.quad	0
	.quad	0
.Ldebug_ranges3:
	.quad	.Ltmp26-.Lfunc_begin0
	.quad	.Ltmp27-.Lfunc_begin0
	;; [unrolled: 1-line block ×4, first 2 shown]
	.quad	0
	.quad	0
.Ldebug_ranges4:
	.quad	.Ltmp32-.Lfunc_begin0
	.quad	.Ltmp35-.Lfunc_begin0
	;; [unrolled: 1-line block ×6, first 2 shown]
	.quad	0
	.quad	0
	.section	.debug_str,"MS",@progbits,1
.Linfo_string0:
	.asciz	"triton"                        ; string offset=0
.Linfo_string1:
	.asciz	"sum_bitmatrix_rows.py"         ; string offset=7
.Linfo_string2:
	.asciz	"/root/src/amdgpu-assembly/repos/triton-lang__triton-aot" ; string offset=29
.Linfo_string3:
	.asciz	"_sum_bitmatrix_rows"           ; string offset=85
	.section	".note.GNU-stack","",@progbits
	.amdgpu_metadata
---
amdhsa.kernels:
  - .args:
      - .address_space:  global
        .offset:         0
        .size:           8
        .value_kind:     global_buffer
      - .offset:         8
        .size:           4
        .value_kind:     by_value
      - .address_space:  global
        .offset:         16
        .size:           8
        .value_kind:     global_buffer
      - .address_space:  global
        .offset:         24
        .size:           8
        .value_kind:     global_buffer
      - .offset:         32
        .size:           4
        .value_kind:     by_value
      - .offset:         36
        .size:           4
        .value_kind:     by_value
      - .address_space:  global
        .offset:         40
        .size:           8
        .value_kind:     global_buffer
      - .address_space:  global
        .offset:         48
        .size:           8
        .value_kind:     global_buffer
    .group_segment_fixed_size: 0
    .kernarg_segment_align: 8
    .kernarg_segment_size: 56
    .max_flat_workgroup_size: 256
    .name:           _sum_bitmatrix_rows
    .private_segment_fixed_size: 0
    .sgpr_count:     12
    .sgpr_spill_count: 0
    .symbol:         _sum_bitmatrix_rows.kd
    .uniform_work_group_size: 1
    .uses_dynamic_stack: false
    .vgpr_count:     11
    .vgpr_spill_count: 0
    .wavefront_size: 32
    .workgroup_processor_mode: 1
amdhsa.target:   amdgcn-amd-amdhsa--gfx1201
amdhsa.version:
  - 1
  - 2
...

	.end_amdgpu_metadata
	.section	.debug_line,"",@progbits
.Lline_table_start0:
